;; amdgpu-corpus repo=zjin-lcf/HeCBench kind=compiled arch=gfx1250 opt=O3
	.amdgcn_target "amdgcn-amd-amdhsa--gfx1250"
	.amdhsa_code_object_version 6
	.text
	.protected	_Z10base64_encPKhPhcmj  ; -- Begin function _Z10base64_encPKhPhcmj
	.globl	_Z10base64_encPKhPhcmj
	.p2align	8
	.type	_Z10base64_encPKhPhcmj,@function
_Z10base64_encPKhPhcmj:                 ; @_Z10base64_encPKhPhcmj
; %bb.0:
	s_clause 0x1
	s_load_b32 s2, s[0:1], 0x34
	s_load_b96 s[4:6], s[0:1], 0x18
	s_bfe_u32 s3, ttmp6, 0x4000c
	s_and_b32 s7, ttmp6, 15
	s_add_co_i32 s3, s3, 1
	s_getreg_b32 s8, hwreg(HW_REG_IB_STS2, 6, 4)
	s_mul_i32 s3, ttmp9, s3
	v_mov_b32_e32 v1, 0
	s_add_co_i32 s7, s7, s3
	s_wait_kmcnt 0x0
	s_and_b32 s2, s2, 0xffff
	s_cmp_eq_u32 s8, 0
	s_cselect_b32 s3, ttmp9, s7
	s_delay_alu instid0(SALU_CYCLE_1) | instskip(SKIP_2) | instid1(VALU_DEP_1)
	s_mul_i32 s3, s3, s2
	s_mov_b32 s2, exec_lo
	v_add3_u32 v0, s3, s6, v0
	v_cmpx_gt_u64_e64 s[4:5], v[0:1]
	s_cbranch_execz .LBB0_9
; %bb.1:
	s_clause 0x1
	s_load_b64 s[2:3], s[0:1], 0x0
	s_load_b32 s6, s[0:1], 0x10
	s_wait_kmcnt 0x0
	v_mad_nc_u64_u32 v[6:7], v0, 3, s[2:3]
	s_add_nc_u64 s[2:3], s[4:5], -1
	s_and_b32 s6, s6, 0xff
	v_cmp_ne_u64_e32 vcc_lo, s[2:3], v[0:1]
	s_cmp_eq_u32 s6, 0
	s_cselect_b32 s4, -1, 0
	s_delay_alu instid0(SALU_CYCLE_1)
	s_or_b32 s4, s4, vcc_lo
	global_load_u16 v2, v[6:7], off
	v_cmp_eq_u64_e32 vcc_lo, s[2:3], v[0:1]
	s_cmp_lg_u32 s6, 1
	s_cselect_b32 s5, -1, 0
	s_cmp_eq_u32 s6, 1
	s_cselect_b32 s2, -1, 0
	s_delay_alu instid0(SALU_CYCLE_1) | instskip(SKIP_3) | instid1(VALU_DEP_2)
	s_and_b32 s2, s2, vcc_lo
	s_wait_loadcnt 0x0
	v_dual_lshrrev_b32 v5, 8, v2 :: v_dual_lshlrev_b32 v4, 4, v2
	v_bfe_u32 v8, v2, 2, 6
	v_lshrrev_b16 v3, 4, v5
	s_delay_alu instid0(VALU_DEP_1) | instskip(NEXT) | instid1(VALU_DEP_1)
	v_and_b32_e32 v3, 0xffff, v3
	v_cndmask_b32_e64 v3, v3, 0, s2
	s_get_pc_i64 s[2:3]
	s_add_nc_u64 s[2:3], s[2:3], __const._Z10base64_encPKhPhcmj.base64chars@rel64+4
	s_delay_alu instid0(VALU_DEP_1)
	v_and_or_b32 v9, v4, 48, v3
	global_load_i8 v4, v[6:7], off offset:2
	s_clause 0x1
	global_load_u8 v2, v8, s[2:3]
	global_load_u8 v3, v9, s[2:3]
                                        ; implicit-def: $vgpr6
	s_wait_xcnt 0x0
	s_and_saveexec_b32 s6, s4
	s_delay_alu instid0(SALU_CYCLE_1)
	s_xor_b32 s6, exec_lo, s6
	s_cbranch_execz .LBB0_3
; %bb.2:
	v_dual_lshlrev_b32 v5, 2, v5 :: v_dual_mov_b32 v7, 0
	s_delay_alu instid0(VALU_DEP_1) | instskip(NEXT) | instid1(VALU_DEP_1)
	v_and_b32_e32 v6, 60, v5
                                        ; implicit-def: $vgpr5
	v_add_nc_u64_e32 v[8:9], s[2:3], v[6:7]
	s_wait_loadcnt 0x2
	v_bfe_u32 v6, v4, 6, 2
	s_delay_alu instid0(VALU_DEP_1)
	v_add_nc_u64_e32 v[6:7], v[8:9], v[6:7]
	global_load_u8 v6, v[6:7], off
.LBB0_3:
	s_wait_xcnt 0x0
	s_and_not1_saveexec_b32 s6, s6
	s_cbranch_execz .LBB0_6
; %bb.4:
	s_wait_loadcnt 0x0
	v_mov_b32_e32 v6, 61
	s_and_not1_b32 vcc_lo, exec_lo, s5
	s_cbranch_vccnz .LBB0_6
; %bb.5:
	v_lshlrev_b32_e32 v5, 2, v5
	s_delay_alu instid0(VALU_DEP_1)
	v_and_b32_e32 v5, 60, v5
	global_load_u8 v6, v5, s[2:3]
.LBB0_6:
	s_wait_xcnt 0x0
	s_or_b32 exec_lo, exec_lo, s6
	s_load_b64 s[0:1], s[0:1], 0x8
	v_mov_b32_e32 v5, 61
	s_and_saveexec_b32 s5, s4
	s_cbranch_execz .LBB0_8
; %bb.7:
	s_wait_loadcnt 0x2
	v_dual_mov_b32 v5, 0 :: v_dual_bitop2_b32 v4, 63, v4 bitop3:0x40
	s_delay_alu instid0(VALU_DEP_1)
	v_add_nc_u64_e32 v[4:5], s[2:3], v[4:5]
	global_load_u8 v5, v[4:5], off
.LBB0_8:
	s_wait_xcnt 0x0
	s_or_b32 exec_lo, exec_lo, s5
	s_wait_loadcnt 0x0
	v_perm_b32 v2, v2, v3, 0xc0c0004
	v_perm_b32 v3, v6, v5, 0xc0c0004
	s_wait_kmcnt 0x0
	v_lshl_add_u64 v[0:1], v[0:1], 2, s[0:1]
	s_delay_alu instid0(VALU_DEP_2)
	v_lshl_or_b32 v2, v3, 16, v2
	global_store_b32 v[0:1], v2, off
.LBB0_9:
	s_endpgm
	.section	.rodata,"a",@progbits
	.p2align	6, 0x0
	.amdhsa_kernel _Z10base64_encPKhPhcmj
		.amdhsa_group_segment_fixed_size 0
		.amdhsa_private_segment_fixed_size 0
		.amdhsa_kernarg_size 296
		.amdhsa_user_sgpr_count 2
		.amdhsa_user_sgpr_dispatch_ptr 0
		.amdhsa_user_sgpr_queue_ptr 0
		.amdhsa_user_sgpr_kernarg_segment_ptr 1
		.amdhsa_user_sgpr_dispatch_id 0
		.amdhsa_user_sgpr_kernarg_preload_length 0
		.amdhsa_user_sgpr_kernarg_preload_offset 0
		.amdhsa_user_sgpr_private_segment_size 0
		.amdhsa_wavefront_size32 1
		.amdhsa_uses_dynamic_stack 0
		.amdhsa_enable_private_segment 0
		.amdhsa_system_sgpr_workgroup_id_x 1
		.amdhsa_system_sgpr_workgroup_id_y 0
		.amdhsa_system_sgpr_workgroup_id_z 0
		.amdhsa_system_sgpr_workgroup_info 0
		.amdhsa_system_vgpr_workitem_id 0
		.amdhsa_next_free_vgpr 10
		.amdhsa_next_free_sgpr 9
		.amdhsa_named_barrier_count 0
		.amdhsa_reserve_vcc 1
		.amdhsa_float_round_mode_32 0
		.amdhsa_float_round_mode_16_64 0
		.amdhsa_float_denorm_mode_32 3
		.amdhsa_float_denorm_mode_16_64 3
		.amdhsa_fp16_overflow 0
		.amdhsa_memory_ordered 1
		.amdhsa_forward_progress 1
		.amdhsa_inst_pref_size 5
		.amdhsa_round_robin_scheduling 0
		.amdhsa_exception_fp_ieee_invalid_op 0
		.amdhsa_exception_fp_denorm_src 0
		.amdhsa_exception_fp_ieee_div_zero 0
		.amdhsa_exception_fp_ieee_overflow 0
		.amdhsa_exception_fp_ieee_underflow 0
		.amdhsa_exception_fp_ieee_inexact 0
		.amdhsa_exception_int_div_zero 0
	.end_amdhsa_kernel
	.text
.Lfunc_end0:
	.size	_Z10base64_encPKhPhcmj, .Lfunc_end0-_Z10base64_encPKhPhcmj
                                        ; -- End function
	.set _Z10base64_encPKhPhcmj.num_vgpr, 10
	.set _Z10base64_encPKhPhcmj.num_agpr, 0
	.set _Z10base64_encPKhPhcmj.numbered_sgpr, 9
	.set _Z10base64_encPKhPhcmj.num_named_barrier, 0
	.set _Z10base64_encPKhPhcmj.private_seg_size, 0
	.set _Z10base64_encPKhPhcmj.uses_vcc, 1
	.set _Z10base64_encPKhPhcmj.uses_flat_scratch, 0
	.set _Z10base64_encPKhPhcmj.has_dyn_sized_stack, 0
	.set _Z10base64_encPKhPhcmj.has_recursion, 0
	.set _Z10base64_encPKhPhcmj.has_indirect_call, 0
	.section	.AMDGPU.csdata,"",@progbits
; Kernel info:
; codeLenInByte = 596
; TotalNumSgprs: 11
; NumVgprs: 10
; ScratchSize: 0
; MemoryBound: 0
; FloatMode: 240
; IeeeMode: 1
; LDSByteSize: 0 bytes/workgroup (compile time only)
; SGPRBlocks: 0
; VGPRBlocks: 0
; NumSGPRsForWavesPerEU: 11
; NumVGPRsForWavesPerEU: 10
; NamedBarCnt: 0
; Occupancy: 16
; WaveLimiterHint : 0
; COMPUTE_PGM_RSRC2:SCRATCH_EN: 0
; COMPUTE_PGM_RSRC2:USER_SGPR: 2
; COMPUTE_PGM_RSRC2:TRAP_HANDLER: 0
; COMPUTE_PGM_RSRC2:TGID_X_EN: 1
; COMPUTE_PGM_RSRC2:TGID_Y_EN: 0
; COMPUTE_PGM_RSRC2:TGID_Z_EN: 0
; COMPUTE_PGM_RSRC2:TIDIG_COMP_CNT: 0
	.text
	.p2alignl 7, 3214868480
	.fill 96, 4, 3214868480
	.section	.AMDGPU.gpr_maximums,"",@progbits
	.set amdgpu.max_num_vgpr, 0
	.set amdgpu.max_num_agpr, 0
	.set amdgpu.max_num_sgpr, 0
	.text
	.type	__const._Z10base64_encPKhPhcmj.base64chars,@object ; @__const._Z10base64_encPKhPhcmj.base64chars
	.section	.rodata.str1.16,"aMS",@progbits,1
	.p2align	4, 0x0
__const._Z10base64_encPKhPhcmj.base64chars:
	.asciz	"ABCDEFGHIJKLMNOPQRSTUVWXYZabcdefghijklmnopqrstuvwxyz0123456789+/"
	.size	__const._Z10base64_encPKhPhcmj.base64chars, 65

	.type	__hip_cuid_aa1204b498880601,@object ; @__hip_cuid_aa1204b498880601
	.section	.bss,"aw",@nobits
	.globl	__hip_cuid_aa1204b498880601
__hip_cuid_aa1204b498880601:
	.byte	0                               ; 0x0
	.size	__hip_cuid_aa1204b498880601, 1

	.ident	"AMD clang version 22.0.0git (https://github.com/RadeonOpenCompute/llvm-project roc-7.2.4 26084 f58b06dce1f9c15707c5f808fd002e18c2accf7e)"
	.section	".note.GNU-stack","",@progbits
	.addrsig
	.addrsig_sym __hip_cuid_aa1204b498880601
	.amdgpu_metadata
---
amdhsa.kernels:
  - .args:
      - .actual_access:  read_only
        .address_space:  global
        .offset:         0
        .size:           8
        .value_kind:     global_buffer
      - .actual_access:  write_only
        .address_space:  global
        .offset:         8
        .size:           8
        .value_kind:     global_buffer
      - .offset:         16
        .size:           1
        .value_kind:     by_value
      - .offset:         24
        .size:           8
        .value_kind:     by_value
      - .offset:         32
        .size:           4
        .value_kind:     by_value
      - .offset:         40
        .size:           4
        .value_kind:     hidden_block_count_x
      - .offset:         44
        .size:           4
        .value_kind:     hidden_block_count_y
      - .offset:         48
        .size:           4
        .value_kind:     hidden_block_count_z
      - .offset:         52
        .size:           2
        .value_kind:     hidden_group_size_x
      - .offset:         54
        .size:           2
        .value_kind:     hidden_group_size_y
      - .offset:         56
        .size:           2
        .value_kind:     hidden_group_size_z
      - .offset:         58
        .size:           2
        .value_kind:     hidden_remainder_x
      - .offset:         60
        .size:           2
        .value_kind:     hidden_remainder_y
      - .offset:         62
        .size:           2
        .value_kind:     hidden_remainder_z
      - .offset:         80
        .size:           8
        .value_kind:     hidden_global_offset_x
      - .offset:         88
        .size:           8
        .value_kind:     hidden_global_offset_y
      - .offset:         96
        .size:           8
        .value_kind:     hidden_global_offset_z
      - .offset:         104
        .size:           2
        .value_kind:     hidden_grid_dims
    .group_segment_fixed_size: 0
    .kernarg_segment_align: 8
    .kernarg_segment_size: 296
    .language:       OpenCL C
    .language_version:
      - 2
      - 0
    .max_flat_workgroup_size: 1024
    .name:           _Z10base64_encPKhPhcmj
    .private_segment_fixed_size: 0
    .sgpr_count:     11
    .sgpr_spill_count: 0
    .symbol:         _Z10base64_encPKhPhcmj.kd
    .uniform_work_group_size: 1
    .uses_dynamic_stack: false
    .vgpr_count:     10
    .vgpr_spill_count: 0
    .wavefront_size: 32
amdhsa.target:   amdgcn-amd-amdhsa--gfx1250
amdhsa.version:
  - 1
  - 2
...

	.end_amdgpu_metadata
